;; amdgpu-corpus repo=ROCm/rocFFT kind=compiled arch=gfx1201 opt=O3
	.text
	.amdgcn_target "amdgcn-amd-amdhsa--gfx1201"
	.amdhsa_code_object_version 6
	.protected	fft_rtc_back_len3888_factors_16_3_3_3_3_3_wgs_324_tpt_324_halfLds_sp_op_CI_CI_unitstride_sbrr_dirReg ; -- Begin function fft_rtc_back_len3888_factors_16_3_3_3_3_3_wgs_324_tpt_324_halfLds_sp_op_CI_CI_unitstride_sbrr_dirReg
	.globl	fft_rtc_back_len3888_factors_16_3_3_3_3_3_wgs_324_tpt_324_halfLds_sp_op_CI_CI_unitstride_sbrr_dirReg
	.p2align	8
	.type	fft_rtc_back_len3888_factors_16_3_3_3_3_3_wgs_324_tpt_324_halfLds_sp_op_CI_CI_unitstride_sbrr_dirReg,@function
fft_rtc_back_len3888_factors_16_3_3_3_3_3_wgs_324_tpt_324_halfLds_sp_op_CI_CI_unitstride_sbrr_dirReg: ; @fft_rtc_back_len3888_factors_16_3_3_3_3_3_wgs_324_tpt_324_halfLds_sp_op_CI_CI_unitstride_sbrr_dirReg
; %bb.0:
	s_clause 0x2
	s_load_b128 s[8:11], s[0:1], 0x0
	s_load_b128 s[4:7], s[0:1], 0x58
	;; [unrolled: 1-line block ×3, first 2 shown]
	v_mul_u32_u24_e32 v1, 0x195, v0
	v_dual_mov_b32 v5, 0 :: v_dual_mov_b32 v10, 0
	v_mov_b32_e32 v11, 0
	s_delay_alu instid0(VALU_DEP_3) | instskip(NEXT) | instid1(VALU_DEP_1)
	v_lshrrev_b32_e32 v1, 17, v1
	v_dual_mov_b32 v8, v5 :: v_dual_add_nc_u32 v7, ttmp9, v1
	s_wait_kmcnt 0x0
	v_cmp_lt_u64_e64 s2, s[10:11], 2
	s_delay_alu instid0(VALU_DEP_1)
	s_and_b32 vcc_lo, exec_lo, s2
	s_cbranch_vccnz .LBB0_8
; %bb.1:
	s_load_b64 s[2:3], s[0:1], 0x10
	v_mov_b32_e32 v10, 0
	v_mov_b32_e32 v11, 0
	s_delay_alu instid0(VALU_DEP_2)
	v_mov_b32_e32 v1, v10
	s_add_nc_u64 s[16:17], s[14:15], 8
	s_add_nc_u64 s[18:19], s[12:13], 8
	s_mov_b64 s[20:21], 1
	v_mov_b32_e32 v2, v11
	s_wait_kmcnt 0x0
	s_add_nc_u64 s[22:23], s[2:3], 8
	s_mov_b32 s3, 0
.LBB0_2:                                ; =>This Inner Loop Header: Depth=1
	s_load_b64 s[24:25], s[22:23], 0x0
                                        ; implicit-def: $vgpr3_vgpr4
	s_mov_b32 s2, exec_lo
	s_wait_kmcnt 0x0
	v_or_b32_e32 v6, s25, v8
	s_delay_alu instid0(VALU_DEP_1)
	v_cmpx_ne_u64_e32 0, v[5:6]
	s_wait_alu 0xfffe
	s_xor_b32 s26, exec_lo, s2
	s_cbranch_execz .LBB0_4
; %bb.3:                                ;   in Loop: Header=BB0_2 Depth=1
	s_cvt_f32_u32 s2, s24
	s_cvt_f32_u32 s27, s25
	s_sub_nc_u64 s[30:31], 0, s[24:25]
	s_wait_alu 0xfffe
	s_delay_alu instid0(SALU_CYCLE_1) | instskip(SKIP_1) | instid1(SALU_CYCLE_2)
	s_fmamk_f32 s2, s27, 0x4f800000, s2
	s_wait_alu 0xfffe
	v_s_rcp_f32 s2, s2
	s_delay_alu instid0(TRANS32_DEP_1) | instskip(SKIP_1) | instid1(SALU_CYCLE_2)
	s_mul_f32 s2, s2, 0x5f7ffffc
	s_wait_alu 0xfffe
	s_mul_f32 s27, s2, 0x2f800000
	s_wait_alu 0xfffe
	s_delay_alu instid0(SALU_CYCLE_2) | instskip(SKIP_1) | instid1(SALU_CYCLE_2)
	s_trunc_f32 s27, s27
	s_wait_alu 0xfffe
	s_fmamk_f32 s2, s27, 0xcf800000, s2
	s_cvt_u32_f32 s29, s27
	s_wait_alu 0xfffe
	s_delay_alu instid0(SALU_CYCLE_1) | instskip(SKIP_1) | instid1(SALU_CYCLE_2)
	s_cvt_u32_f32 s28, s2
	s_wait_alu 0xfffe
	s_mul_u64 s[34:35], s[30:31], s[28:29]
	s_wait_alu 0xfffe
	s_mul_hi_u32 s37, s28, s35
	s_mul_i32 s36, s28, s35
	s_mul_hi_u32 s2, s28, s34
	s_mul_i32 s33, s29, s34
	s_wait_alu 0xfffe
	s_add_nc_u64 s[36:37], s[2:3], s[36:37]
	s_mul_hi_u32 s27, s29, s34
	s_mul_hi_u32 s38, s29, s35
	s_add_co_u32 s2, s36, s33
	s_wait_alu 0xfffe
	s_add_co_ci_u32 s2, s37, s27
	s_mul_i32 s34, s29, s35
	s_add_co_ci_u32 s35, s38, 0
	s_wait_alu 0xfffe
	s_add_nc_u64 s[34:35], s[2:3], s[34:35]
	s_wait_alu 0xfffe
	v_add_co_u32 v3, s2, s28, s34
	s_delay_alu instid0(VALU_DEP_1) | instskip(SKIP_1) | instid1(VALU_DEP_1)
	s_cmp_lg_u32 s2, 0
	s_add_co_ci_u32 s29, s29, s35
	v_readfirstlane_b32 s28, v3
	s_wait_alu 0xfffe
	s_delay_alu instid0(VALU_DEP_1)
	s_mul_u64 s[30:31], s[30:31], s[28:29]
	s_wait_alu 0xfffe
	s_mul_hi_u32 s35, s28, s31
	s_mul_i32 s34, s28, s31
	s_mul_hi_u32 s2, s28, s30
	s_mul_i32 s33, s29, s30
	s_wait_alu 0xfffe
	s_add_nc_u64 s[34:35], s[2:3], s[34:35]
	s_mul_hi_u32 s27, s29, s30
	s_mul_hi_u32 s28, s29, s31
	s_wait_alu 0xfffe
	s_add_co_u32 s2, s34, s33
	s_add_co_ci_u32 s2, s35, s27
	s_mul_i32 s30, s29, s31
	s_add_co_ci_u32 s31, s28, 0
	s_wait_alu 0xfffe
	s_add_nc_u64 s[30:31], s[2:3], s[30:31]
	s_wait_alu 0xfffe
	v_add_co_u32 v6, s2, v3, s30
	s_delay_alu instid0(VALU_DEP_1) | instskip(SKIP_1) | instid1(VALU_DEP_1)
	s_cmp_lg_u32 s2, 0
	s_add_co_ci_u32 s2, s29, s31
	v_mul_hi_u32 v9, v7, v6
	s_wait_alu 0xfffe
	v_mad_co_u64_u32 v[3:4], null, v7, s2, 0
	v_mad_co_u64_u32 v[12:13], null, v8, v6, 0
	;; [unrolled: 1-line block ×3, first 2 shown]
	s_delay_alu instid0(VALU_DEP_3) | instskip(SKIP_1) | instid1(VALU_DEP_4)
	v_add_co_u32 v3, vcc_lo, v9, v3
	s_wait_alu 0xfffd
	v_add_co_ci_u32_e32 v4, vcc_lo, 0, v4, vcc_lo
	s_delay_alu instid0(VALU_DEP_2) | instskip(SKIP_1) | instid1(VALU_DEP_2)
	v_add_co_u32 v3, vcc_lo, v3, v12
	s_wait_alu 0xfffd
	v_add_co_ci_u32_e32 v3, vcc_lo, v4, v13, vcc_lo
	s_wait_alu 0xfffd
	v_add_co_ci_u32_e32 v4, vcc_lo, 0, v15, vcc_lo
	s_delay_alu instid0(VALU_DEP_2) | instskip(SKIP_1) | instid1(VALU_DEP_2)
	v_add_co_u32 v6, vcc_lo, v3, v14
	s_wait_alu 0xfffd
	v_add_co_ci_u32_e32 v9, vcc_lo, 0, v4, vcc_lo
	s_delay_alu instid0(VALU_DEP_2) | instskip(SKIP_1) | instid1(VALU_DEP_3)
	v_mul_lo_u32 v12, s25, v6
	v_mad_co_u64_u32 v[3:4], null, s24, v6, 0
	v_mul_lo_u32 v13, s24, v9
	s_delay_alu instid0(VALU_DEP_2) | instskip(NEXT) | instid1(VALU_DEP_2)
	v_sub_co_u32 v3, vcc_lo, v7, v3
	v_add3_u32 v4, v4, v13, v12
	s_delay_alu instid0(VALU_DEP_1) | instskip(SKIP_1) | instid1(VALU_DEP_1)
	v_sub_nc_u32_e32 v12, v8, v4
	s_wait_alu 0xfffd
	v_subrev_co_ci_u32_e64 v12, s2, s25, v12, vcc_lo
	v_add_co_u32 v13, s2, v6, 2
	s_wait_alu 0xf1ff
	v_add_co_ci_u32_e64 v14, s2, 0, v9, s2
	v_sub_co_u32 v15, s2, v3, s24
	v_sub_co_ci_u32_e32 v4, vcc_lo, v8, v4, vcc_lo
	s_wait_alu 0xf1ff
	v_subrev_co_ci_u32_e64 v12, s2, 0, v12, s2
	s_delay_alu instid0(VALU_DEP_3) | instskip(NEXT) | instid1(VALU_DEP_3)
	v_cmp_le_u32_e32 vcc_lo, s24, v15
	v_cmp_eq_u32_e64 s2, s25, v4
	s_wait_alu 0xfffd
	v_cndmask_b32_e64 v15, 0, -1, vcc_lo
	v_cmp_le_u32_e32 vcc_lo, s25, v12
	s_wait_alu 0xfffd
	v_cndmask_b32_e64 v16, 0, -1, vcc_lo
	v_cmp_le_u32_e32 vcc_lo, s24, v3
	;; [unrolled: 3-line block ×3, first 2 shown]
	s_wait_alu 0xfffd
	v_cndmask_b32_e64 v17, 0, -1, vcc_lo
	v_cmp_eq_u32_e32 vcc_lo, s25, v12
	s_wait_alu 0xf1ff
	s_delay_alu instid0(VALU_DEP_2)
	v_cndmask_b32_e64 v3, v17, v3, s2
	s_wait_alu 0xfffd
	v_cndmask_b32_e32 v12, v16, v15, vcc_lo
	v_add_co_u32 v15, vcc_lo, v6, 1
	s_wait_alu 0xfffd
	v_add_co_ci_u32_e32 v16, vcc_lo, 0, v9, vcc_lo
	s_delay_alu instid0(VALU_DEP_3) | instskip(SKIP_2) | instid1(VALU_DEP_3)
	v_cmp_ne_u32_e32 vcc_lo, 0, v12
	s_wait_alu 0xfffd
	v_cndmask_b32_e32 v12, v15, v13, vcc_lo
	v_cndmask_b32_e32 v4, v16, v14, vcc_lo
	v_cmp_ne_u32_e32 vcc_lo, 0, v3
	s_wait_alu 0xfffd
	s_delay_alu instid0(VALU_DEP_3) | instskip(NEXT) | instid1(VALU_DEP_3)
	v_cndmask_b32_e32 v3, v6, v12, vcc_lo
	v_cndmask_b32_e32 v4, v9, v4, vcc_lo
.LBB0_4:                                ;   in Loop: Header=BB0_2 Depth=1
	s_wait_alu 0xfffe
	s_and_not1_saveexec_b32 s2, s26
	s_cbranch_execz .LBB0_6
; %bb.5:                                ;   in Loop: Header=BB0_2 Depth=1
	v_cvt_f32_u32_e32 v3, s24
	s_sub_co_i32 s26, 0, s24
	s_delay_alu instid0(VALU_DEP_1) | instskip(NEXT) | instid1(TRANS32_DEP_1)
	v_rcp_iflag_f32_e32 v3, v3
	v_mul_f32_e32 v3, 0x4f7ffffe, v3
	s_delay_alu instid0(VALU_DEP_1) | instskip(SKIP_1) | instid1(VALU_DEP_1)
	v_cvt_u32_f32_e32 v3, v3
	s_wait_alu 0xfffe
	v_mul_lo_u32 v4, s26, v3
	s_delay_alu instid0(VALU_DEP_1) | instskip(NEXT) | instid1(VALU_DEP_1)
	v_mul_hi_u32 v4, v3, v4
	v_add_nc_u32_e32 v3, v3, v4
	s_delay_alu instid0(VALU_DEP_1) | instskip(NEXT) | instid1(VALU_DEP_1)
	v_mul_hi_u32 v3, v7, v3
	v_mul_lo_u32 v4, v3, s24
	v_add_nc_u32_e32 v6, 1, v3
	s_delay_alu instid0(VALU_DEP_2) | instskip(NEXT) | instid1(VALU_DEP_1)
	v_sub_nc_u32_e32 v4, v7, v4
	v_subrev_nc_u32_e32 v9, s24, v4
	v_cmp_le_u32_e32 vcc_lo, s24, v4
	s_wait_alu 0xfffd
	s_delay_alu instid0(VALU_DEP_2) | instskip(NEXT) | instid1(VALU_DEP_1)
	v_dual_cndmask_b32 v4, v4, v9 :: v_dual_cndmask_b32 v3, v3, v6
	v_cmp_le_u32_e32 vcc_lo, s24, v4
	v_mov_b32_e32 v4, v5
	s_delay_alu instid0(VALU_DEP_3) | instskip(SKIP_1) | instid1(VALU_DEP_1)
	v_add_nc_u32_e32 v6, 1, v3
	s_wait_alu 0xfffd
	v_cndmask_b32_e32 v3, v3, v6, vcc_lo
.LBB0_6:                                ;   in Loop: Header=BB0_2 Depth=1
	s_wait_alu 0xfffe
	s_or_b32 exec_lo, exec_lo, s2
	v_mul_lo_u32 v6, v4, s24
	s_delay_alu instid0(VALU_DEP_2)
	v_mul_lo_u32 v9, v3, s25
	s_load_b64 s[26:27], s[18:19], 0x0
	v_mad_co_u64_u32 v[12:13], null, v3, s24, 0
	s_load_b64 s[24:25], s[16:17], 0x0
	s_add_nc_u64 s[20:21], s[20:21], 1
	s_add_nc_u64 s[16:17], s[16:17], 8
	s_wait_alu 0xfffe
	v_cmp_ge_u64_e64 s2, s[20:21], s[10:11]
	s_add_nc_u64 s[18:19], s[18:19], 8
	s_add_nc_u64 s[22:23], s[22:23], 8
	v_add3_u32 v6, v13, v9, v6
	v_sub_co_u32 v7, vcc_lo, v7, v12
	s_wait_alu 0xfffd
	s_delay_alu instid0(VALU_DEP_2) | instskip(SKIP_2) | instid1(VALU_DEP_1)
	v_sub_co_ci_u32_e32 v6, vcc_lo, v8, v6, vcc_lo
	s_and_b32 vcc_lo, exec_lo, s2
	s_wait_kmcnt 0x0
	v_mul_lo_u32 v8, s26, v6
	v_mul_lo_u32 v9, s27, v7
	v_mad_co_u64_u32 v[10:11], null, s26, v7, v[10:11]
	v_mul_lo_u32 v6, s24, v6
	v_mul_lo_u32 v12, s25, v7
	v_mad_co_u64_u32 v[1:2], null, s24, v7, v[1:2]
	s_delay_alu instid0(VALU_DEP_4) | instskip(NEXT) | instid1(VALU_DEP_2)
	v_add3_u32 v11, v9, v11, v8
	v_add3_u32 v2, v12, v2, v6
	s_wait_alu 0xfffe
	s_cbranch_vccnz .LBB0_9
; %bb.7:                                ;   in Loop: Header=BB0_2 Depth=1
	v_dual_mov_b32 v8, v4 :: v_dual_mov_b32 v7, v3
	s_branch .LBB0_2
.LBB0_8:
	v_dual_mov_b32 v1, v10 :: v_dual_mov_b32 v2, v11
	v_dual_mov_b32 v3, v7 :: v_dual_mov_b32 v4, v8
.LBB0_9:
	s_load_b64 s[2:3], s[0:1], 0x28
	v_mul_hi_u32_u24_e32 v5, 0xca4588, v0
	v_dual_mov_b32 v7, 0 :: v_dual_mov_b32 v6, 0
	v_dual_mov_b32 v16, 0 :: v_dual_mov_b32 v15, 0
	s_delay_alu instid0(VALU_DEP_3) | instskip(SKIP_2) | instid1(VALU_DEP_3)
	v_mul_u32_u24_e32 v5, 0x144, v5
	v_dual_mov_b32 v20, 0 :: v_dual_mov_b32 v19, 0
	v_dual_mov_b32 v14, 0 :: v_dual_mov_b32 v13, 0
	v_sub_nc_u32_e32 v5, v0, v5
	v_dual_mov_b32 v9, 0 :: v_dual_mov_b32 v8, 0
	v_dual_mov_b32 v18, 0 :: v_dual_mov_b32 v17, 0
	s_delay_alu instid0(VALU_DEP_3)
	v_cmp_gt_u32_e64 s0, 0xf3, v5
	v_dual_mov_b32 v24, 0 :: v_dual_mov_b32 v23, 0
	v_dual_mov_b32 v22, 0 :: v_dual_mov_b32 v21, 0
	s_wait_kmcnt 0x0
	v_cmp_gt_u64_e32 vcc_lo, s[2:3], v[3:4]
	s_lshl_b64 s[2:3], s[10:11], 3
                                        ; implicit-def: $vgpr12
                                        ; implicit-def: $vgpr28
                                        ; implicit-def: $vgpr34
                                        ; implicit-def: $vgpr26
                                        ; implicit-def: $vgpr36
                                        ; implicit-def: $vgpr30
                                        ; implicit-def: $vgpr38
                                        ; implicit-def: $vgpr32
	s_and_b32 s1, vcc_lo, s0
	s_wait_alu 0xfffe
	s_and_saveexec_b32 s10, s1
	s_cbranch_execz .LBB0_11
; %bb.10:
	s_add_nc_u64 s[12:13], s[12:13], s[2:3]
	v_lshlrev_b64_e32 v[9:10], 3, v[10:11]
	s_load_b64 s[12:13], s[12:13], 0x0
	s_wait_kmcnt 0x0
	v_mul_lo_u32 v0, s13, v3
	v_mul_lo_u32 v8, s12, v4
	v_mad_co_u64_u32 v[6:7], null, s12, v3, 0
	s_delay_alu instid0(VALU_DEP_1) | instskip(NEXT) | instid1(VALU_DEP_1)
	v_add3_u32 v7, v7, v8, v0
	v_lshlrev_b64_e32 v[7:8], 3, v[6:7]
	v_mov_b32_e32 v6, 0
	s_delay_alu instid0(VALU_DEP_2) | instskip(SKIP_1) | instid1(VALU_DEP_3)
	v_add_co_u32 v0, s1, s4, v7
	s_wait_alu 0xf1ff
	v_add_co_ci_u32_e64 v8, s1, s5, v8, s1
	s_delay_alu instid0(VALU_DEP_3) | instskip(NEXT) | instid1(VALU_DEP_3)
	v_lshlrev_b64_e32 v[6:7], 3, v[5:6]
	v_add_co_u32 v0, s1, v0, v9
	s_wait_alu 0xf1ff
	s_delay_alu instid0(VALU_DEP_3) | instskip(NEXT) | instid1(VALU_DEP_2)
	v_add_co_ci_u32_e64 v8, s1, v8, v10, s1
	v_add_co_u32 v31, s1, v0, v6
	s_wait_alu 0xf1ff
	s_delay_alu instid0(VALU_DEP_2)
	v_add_co_ci_u32_e64 v32, s1, v8, v7, s1
	s_clause 0xf
	global_load_b64 v[6:7], v[31:32], off
	global_load_b64 v[15:16], v[31:32], off offset:1944
	global_load_b64 v[19:20], v[31:32], off offset:3888
	;; [unrolled: 1-line block ×15, first 2 shown]
.LBB0_11:
	s_wait_alu 0xfffe
	s_or_b32 exec_lo, exec_lo, s10
	s_wait_loadcnt 0x5
	v_dual_sub_f32 v39, v19, v33 :: v_dual_sub_f32 v40, v20, v34
	s_wait_loadcnt 0x1
	v_dual_sub_f32 v10, v8, v35 :: v_dual_sub_f32 v35, v23, v37
	v_sub_f32_e32 v34, v9, v36
	s_delay_alu instid0(VALU_DEP_3)
	v_fma_f32 v0, v19, 2.0, -v39
	v_sub_f32_e32 v19, v24, v38
	v_fma_f32 v33, v20, 2.0, -v40
	v_dual_sub_f32 v20, v15, v27 :: v_dual_sub_f32 v27, v16, v28
	v_dual_sub_f32 v28, v17, v29 :: v_dual_sub_f32 v29, v18, v30
	v_fma_f32 v23, v23, 2.0, -v35
	v_fma_f32 v24, v24, 2.0, -v19
	s_delay_alu instid0(VALU_DEP_4)
	v_fma_f32 v16, v16, 2.0, -v27
	v_fma_f32 v15, v15, 2.0, -v20
	;; [unrolled: 1-line block ×4, first 2 shown]
	s_wait_loadcnt 0x0
	v_dual_sub_f32 v36, v13, v25 :: v_dual_sub_f32 v37, v22, v32
	v_dual_sub_f32 v26, v14, v26 :: v_dual_sub_f32 v31, v21, v31
	v_dual_add_f32 v19, v39, v19 :: v_dual_sub_f32 v18, v16, v18
	s_delay_alu instid0(VALU_DEP_3) | instskip(NEXT) | instid1(VALU_DEP_3)
	v_fma_f32 v38, v13, 2.0, -v36
	v_fma_f32 v14, v14, 2.0, -v26
	s_delay_alu instid0(VALU_DEP_4)
	v_fma_f32 v21, v21, 2.0, -v31
	v_fma_f32 v22, v22, 2.0, -v37
	v_dual_sub_f32 v25, v0, v23 :: v_dual_sub_f32 v30, v33, v24
	v_fma_f32 v23, v39, 2.0, -v19
	v_sub_f32_e32 v17, v15, v17
	v_add_f32_e32 v39, v20, v29
	v_fma_f32 v32, v16, 2.0, -v18
	v_sub_f32_e32 v31, v26, v31
	v_sub_f32_e32 v35, v40, v35
	s_delay_alu instid0(VALU_DEP_4) | instskip(SKIP_1) | instid1(VALU_DEP_4)
	v_fma_f32 v16, v20, 2.0, -v39
	v_sub_f32_e32 v20, v38, v21
	v_fma_f32 v29, v26, 2.0, -v31
	v_dual_sub_f32 v21, v14, v22 :: v_dual_add_f32 v22, v36, v37
	v_mul_f32_e32 v26, 0x3f3504f3, v23
	v_fma_f32 v13, v15, 2.0, -v17
	v_sub_f32_e32 v15, v27, v28
	v_fma_f32 v24, v40, 2.0, -v35
	v_fma_f32 v28, v36, 2.0, -v22
	s_delay_alu instid0(VALU_DEP_3) | instskip(NEXT) | instid1(VALU_DEP_3)
	v_fma_f32 v37, v27, 2.0, -v15
	v_mul_f32_e32 v42, 0x3f3504f3, v24
	v_fma_f32 v27, v38, 2.0, -v20
	s_delay_alu instid0(VALU_DEP_3) | instskip(SKIP_2) | instid1(VALU_DEP_3)
	v_fmamk_f32 v24, v29, 0xbf3504f3, v37
	v_fma_f32 v14, v14, 2.0, -v21
	v_fmamk_f32 v23, v28, 0xbf3504f3, v16
	v_dual_sub_f32 v27, v13, v27 :: v_dual_fmac_f32 v24, 0xbf3504f3, v28
	s_delay_alu instid0(VALU_DEP_3) | instskip(SKIP_4) | instid1(VALU_DEP_4)
	v_dual_sub_f32 v44, v32, v14 :: v_dual_mul_f32 v41, 0x3f3504f3, v19
	v_fmamk_f32 v36, v31, 0x3f3504f3, v15
	v_add_f32_e32 v14, v17, v21
	v_fmac_f32_e32 v23, 0x3f3504f3, v29
	v_fmamk_f32 v29, v22, 0x3f3504f3, v39
	v_dual_sub_f32 v19, v18, v20 :: v_dual_fmac_f32 v36, 0xbf3504f3, v22
	s_delay_alu instid0(VALU_DEP_3) | instskip(NEXT) | instid1(VALU_DEP_3)
	v_fma_f32 v28, v16, 2.0, -v23
	v_fmac_f32_e32 v29, 0x3f3504f3, v31
	v_fma_f32 v16, v17, 2.0, -v14
	s_delay_alu instid0(VALU_DEP_4)
	v_fma_f32 v17, v18, 2.0, -v19
	v_mul_f32_e32 v45, 0x3f3504f3, v35
	v_fma_f32 v35, v37, 2.0, -v24
	v_fma_f32 v31, v39, 2.0, -v29
	;; [unrolled: 1-line block ×3, first 2 shown]
	v_dual_mul_f32 v40, 0x3f3504f3, v17 :: v_dual_mul_f32 v37, 0x3f3504f3, v16
	v_mul_f32_e32 v39, 0x3f3504f3, v14
	v_mul_f32_e32 v43, 0x3f3504f3, v19
	s_and_saveexec_b32 s1, s0
	s_cbranch_execz .LBB0_13
; %bb.12:
	v_sub_f32_e32 v11, v6, v11
	v_fma_f32 v8, v8, 2.0, -v10
	v_fma_f32 v0, v0, 2.0, -v25
	;; [unrolled: 1-line block ×3, first 2 shown]
	v_lshl_add_u32 v52, v5, 6, 0
	v_add_f32_e32 v15, v11, v34
	s_delay_alu instid0(VALU_DEP_1) | instskip(SKIP_1) | instid1(VALU_DEP_1)
	v_add_f32_e32 v14, v15, v41
	v_fma_f32 v6, v6, 2.0, -v11
	v_sub_f32_e32 v8, v6, v8
	v_fma_f32 v11, v11, 2.0, -v15
	s_delay_alu instid0(VALU_DEP_2) | instskip(SKIP_2) | instid1(VALU_DEP_4)
	v_add_f32_e32 v19, v8, v30
	v_add_f32_e32 v17, v45, v14
	v_fma_f32 v6, v6, 2.0, -v8
	v_sub_f32_e32 v13, v11, v26
	s_delay_alu instid0(VALU_DEP_4) | instskip(NEXT) | instid1(VALU_DEP_4)
	v_add_f32_e32 v16, v19, v39
	v_fmamk_f32 v14, v29, 0x3f6c835e, v17
	s_delay_alu instid0(VALU_DEP_4) | instskip(NEXT) | instid1(VALU_DEP_4)
	v_sub_f32_e32 v0, v6, v0
	v_add_f32_e32 v47, v42, v13
	v_fma_f32 v48, v15, 2.0, -v17
	v_fma_f32 v8, v8, 2.0, -v19
	v_fmac_f32_e32 v14, 0x3ec3ef15, v36
	v_add_f32_e32 v13, v43, v16
	v_fma_f32 v11, v11, 2.0, -v47
	v_fma_f32 v6, v6, 2.0, -v0
	v_sub_f32_e32 v46, v8, v37
	v_fmamk_f32 v18, v31, 0xbec3ef15, v48
	v_dual_fmamk_f32 v16, v23, 0x3ec3ef15, v47 :: v_dual_add_f32 v15, v0, v44
	s_delay_alu instid0(VALU_DEP_4) | instskip(SKIP_3) | instid1(VALU_DEP_4)
	v_dual_fmamk_f32 v22, v28, 0xbf6c835e, v11 :: v_dual_sub_f32 v21, v6, v21
	v_fma_f32 v20, v17, 2.0, -v14
	v_add_f32_e32 v17, v40, v46
	v_fmac_f32_e32 v18, 0x3f6c835e, v38
	v_fmac_f32_e32 v22, 0x3ec3ef15, v35
	v_fmac_f32_e32 v16, 0x3f6c835e, v24
	v_fma_f32 v50, v6, 2.0, -v21
	v_fma_f32 v19, v19, 2.0, -v13
	;; [unrolled: 1-line block ×7, first 2 shown]
	ds_store_2addr_b64 v52, v[50:51], v[48:49] offset1:1
	ds_store_2addr_b64 v52, v[46:47], v[19:20] offset0:2 offset1:3
	ds_store_2addr_b64 v52, v[21:22], v[17:18] offset0:4 offset1:5
	;; [unrolled: 1-line block ×3, first 2 shown]
.LBB0_13:
	s_wait_alu 0xfffe
	s_or_b32 exec_lo, exec_lo, s1
	v_lshl_add_u32 v0, v5, 2, 0
	global_wb scope:SCOPE_SE
	s_wait_dscnt 0x0
	s_barrier_signal -1
	s_barrier_wait -1
	global_inv scope:SCOPE_SE
	ds_load_b32 v6, v0
	ds_load_b32 v8, v0 offset:1296
	ds_load_b32 v13, v0 offset:2592
	;; [unrolled: 1-line block ×11, first 2 shown]
	s_add_nc_u64 s[2:3], s[14:15], s[2:3]
	global_wb scope:SCOPE_SE
	s_wait_dscnt 0x0
	s_barrier_signal -1
	s_barrier_wait -1
	global_inv scope:SCOPE_SE
	s_and_saveexec_b32 s1, s0
	s_cbranch_execz .LBB0_15
; %bb.14:
	v_sub_f32_e32 v11, v7, v12
	v_fma_f32 v9, v9, 2.0, -v34
	v_fma_f32 v12, v33, 2.0, -v30
	v_fma_f32 v32, v32, 2.0, -v44
	s_delay_alu instid0(VALU_DEP_4) | instskip(NEXT) | instid1(VALU_DEP_1)
	v_sub_f32_e32 v10, v11, v10
	v_add_f32_e32 v30, v10, v45
	v_fma_f32 v7, v7, 2.0, -v11
	s_delay_alu instid0(VALU_DEP_2) | instskip(NEXT) | instid1(VALU_DEP_2)
	v_sub_f32_e32 v41, v30, v41
	v_sub_f32_e32 v9, v7, v9
	v_fma_f32 v11, v11, 2.0, -v10
	s_delay_alu instid0(VALU_DEP_3) | instskip(SKIP_1) | instid1(VALU_DEP_4)
	v_fma_f32 v46, v10, 2.0, -v41
	v_fmamk_f32 v10, v36, 0x3f6c835e, v41
	v_fma_f32 v7, v7, 2.0, -v9
	s_delay_alu instid0(VALU_DEP_4) | instskip(SKIP_1) | instid1(VALU_DEP_4)
	v_dual_sub_f32 v33, v11, v42 :: v_dual_sub_f32 v34, v9, v25
	v_mad_u32_u24 v42, v5, 60, v0
	v_fmac_f32_e32 v10, 0xbec3ef15, v29
	s_delay_alu instid0(VALU_DEP_3) | instskip(NEXT) | instid1(VALU_DEP_4)
	v_dual_sub_f32 v44, v7, v12 :: v_dual_sub_f32 v45, v33, v26
	v_fma_f32 v33, v9, 2.0, -v34
	v_add_f32_e32 v9, v34, v43
	v_fmamk_f32 v12, v38, 0xbec3ef15, v46
	s_delay_alu instid0(VALU_DEP_4)
	v_fma_f32 v7, v7, 2.0, -v44
	v_fmamk_f32 v26, v24, 0x3ec3ef15, v45
	v_fma_f32 v36, v11, 2.0, -v45
	v_sub_f32_e32 v11, v33, v40
	v_sub_f32_e32 v9, v9, v39
	;; [unrolled: 1-line block ×3, first 2 shown]
	v_dual_sub_f32 v29, v7, v32 :: v_dual_fmac_f32 v12, 0xbf6c835e, v31
	v_fmamk_f32 v30, v35, 0xbf6c835e, v36
	v_dual_sub_f32 v11, v11, v37 :: v_dual_fmac_f32 v26, 0xbf6c835e, v23
	v_fma_f32 v23, v34, 2.0, -v9
	s_delay_alu instid0(VALU_DEP_4) | instskip(NEXT) | instid1(VALU_DEP_4)
	v_fma_f32 v31, v7, 2.0, -v29
	v_fmac_f32_e32 v30, 0xbec3ef15, v28
	s_delay_alu instid0(VALU_DEP_4)
	v_fma_f32 v33, v33, 2.0, -v11
	v_fma_f32 v34, v46, 2.0, -v12
	;; [unrolled: 1-line block ×6, first 2 shown]
	ds_store_2addr_b64 v42, v[31:32], v[33:34] offset1:1
	ds_store_2addr_b64 v42, v[27:28], v[23:24] offset0:2 offset1:3
	ds_store_2addr_b64 v42, v[29:30], v[11:12] offset0:4 offset1:5
	;; [unrolled: 1-line block ×3, first 2 shown]
.LBB0_15:
	s_wait_alu 0xfffe
	s_or_b32 exec_lo, exec_lo, s1
	v_and_b32_e32 v7, 15, v5
	s_load_b64 s[2:3], s[2:3], 0x0
	global_wb scope:SCOPE_SE
	s_wait_dscnt 0x0
	s_wait_kmcnt 0x0
	s_barrier_signal -1
	s_barrier_wait -1
	v_lshlrev_b32_e32 v9, 4, v7
	global_inv scope:SCOPE_SE
	v_lshrrev_b32_e32 v49, 4, v5
	v_cmp_gt_u32_e64 s0, 0x6c, v5
	global_load_b128 v[23:26], v9, s[8:9]
	v_add_nc_u32_e32 v12, 0x144, v5
	v_mul_u32_u24_e32 v49, 48, v49
	s_delay_alu instid0(VALU_DEP_2) | instskip(NEXT) | instid1(VALU_DEP_1)
	v_and_b32_e32 v39, 15, v12
	v_lshlrev_b32_e32 v27, 4, v39
	global_load_b128 v[27:30], v27, s[8:9]
	v_add_nc_u32_e32 v11, 0x288, v5
	v_add_nc_u32_e32 v10, 0x3cc, v5
	s_delay_alu instid0(VALU_DEP_2) | instskip(NEXT) | instid1(VALU_DEP_2)
	v_and_b32_e32 v9, 15, v11
	v_and_b32_e32 v40, 15, v10
	s_delay_alu instid0(VALU_DEP_2) | instskip(NEXT) | instid1(VALU_DEP_2)
	v_lshlrev_b32_e32 v31, 4, v9
	v_lshlrev_b32_e32 v35, 4, v40
	s_clause 0x1
	global_load_b128 v[31:34], v31, s[8:9]
	global_load_b128 v[35:38], v35, s[8:9]
	ds_load_b32 v41, v0
	ds_load_b32 v42, v0 offset:1296
	ds_load_b32 v43, v0 offset:2592
	;; [unrolled: 1-line block ×11, first 2 shown]
	v_and_b32_e32 v54, 0xffff, v5
	global_wb scope:SCOPE_SE
	s_wait_loadcnt_dscnt 0x0
	s_barrier_signal -1
	s_barrier_wait -1
	global_inv scope:SCOPE_SE
	v_mul_f32_e32 v66, v47, v24
	v_dual_mul_f32 v24, v21, v24 :: v_dual_mul_f32 v67, v50, v26
	v_mul_f32_e32 v26, v22, v26
	v_lshrrev_b32_e32 v55, 4, v12
	v_lshrrev_b32_e32 v56, 4, v11
	v_dual_fmac_f32 v66, v21, v23 :: v_dual_and_b32 v59, 0xffff, v12
	v_fma_f32 v21, v47, v23, -v24
	v_fmac_f32_e32 v67, v22, v25
	v_fma_f32 v22, v50, v25, -v26
	v_and_b32_e32 v60, 0xffff, v11
	v_or_b32_e32 v7, v49, v7
	v_mul_u32_u24_e32 v49, 48, v55
	v_mul_u32_u24_e32 v55, 48, v56
	v_mul_f32_e32 v23, v44, v28
	v_lshrrev_b32_e32 v57, 4, v10
	v_mul_f32_e32 v25, v51, v30
	v_mul_u32_u24_e32 v58, 0xaaab, v54
	v_dual_mul_f32 v24, v17, v28 :: v_dual_and_b32 v61, 0xffff, v10
	s_delay_alu instid0(VALU_DEP_4) | instskip(SKIP_1) | instid1(VALU_DEP_4)
	v_mul_u32_u24_e32 v56, 48, v57
	v_mul_f32_e32 v26, v20, v30
	v_lshrrev_b32_e32 v57, 21, v58
	v_or_b32_e32 v9, v55, v9
	v_or_b32_e32 v39, v49, v39
	v_or_b32_e32 v40, v56, v40
	v_lshl_add_u32 v7, v7, 2, 0
	v_mul_lo_u16 v49, v57, 48
	v_lshl_add_u32 v9, v9, 2, 0
	v_mul_f32_e32 v30, v16, v32
	v_mul_f32_e32 v28, v45, v32
	;; [unrolled: 1-line block ×4, first 2 shown]
	v_mul_u32_u24_e32 v58, 0xaaab, v59
	v_mul_f32_e32 v47, v46, v36
	v_mul_u32_u24_e32 v62, 0xaaab, v60
	v_mul_u32_u24_e32 v63, 0xaaab, v61
	v_sub_nc_u16 v49, v5, v49
	v_lshrrev_b32_e32 v55, 21, v58
	v_mul_f32_e32 v36, v15, v36
	v_lshrrev_b32_e32 v56, 21, v62
	v_lshrrev_b32_e32 v58, 21, v63
	v_and_b32_e32 v49, 0xffff, v49
	v_mul_lo_u16 v62, v55, 48
	v_mul_f32_e32 v50, v53, v38
	v_mul_lo_u16 v63, v56, 48
	s_delay_alu instid0(VALU_DEP_4) | instskip(NEXT) | instid1(VALU_DEP_4)
	v_dual_fmac_f32 v28, v16, v31 :: v_dual_lshlrev_b32 v65, 4, v49
	v_sub_nc_u16 v62, v12, v62
	v_mul_f32_e32 v38, v18, v38
	s_delay_alu instid0(VALU_DEP_4) | instskip(SKIP_3) | instid1(VALU_DEP_4)
	v_sub_nc_u16 v63, v11, v63
	v_fmac_f32_e32 v23, v17, v27
	v_fma_f32 v17, v44, v27, -v24
	v_dual_fmac_f32 v25, v20, v29 :: v_dual_and_b32 v62, 0xffff, v62
	v_and_b32_e32 v63, 0xffff, v63
	v_fma_f32 v20, v51, v29, -v26
	v_fmac_f32_e32 v32, v19, v33
	s_delay_alu instid0(VALU_DEP_4)
	v_lshlrev_b32_e32 v68, 4, v62
	v_dual_add_f32 v24, v6, v66 :: v_dual_add_f32 v29, v41, v21
	v_sub_f32_e32 v27, v21, v22
	v_dual_add_f32 v21, v21, v22 :: v_dual_add_f32 v26, v66, v67
	v_fma_f32 v16, v45, v31, -v30
	v_fma_f32 v19, v52, v33, -v34
	v_dual_fmac_f32 v47, v15, v35 :: v_dual_fmac_f32 v50, v18, v37
	v_fma_f32 v15, v46, v35, -v36
	v_fma_f32 v18, v53, v37, -v38
	v_sub_f32_e32 v30, v66, v67
	v_dual_add_f32 v24, v24, v67 :: v_dual_add_f32 v31, v42, v17
	v_dual_add_f32 v22, v29, v22 :: v_dual_fmac_f32 v41, -0.5, v21
	v_dual_fmac_f32 v6, -0.5, v26 :: v_dual_add_f32 v21, v8, v23
	v_dual_add_f32 v26, v23, v25 :: v_dual_sub_f32 v29, v17, v20
	v_add_f32_e32 v17, v17, v20
	v_add_f32_e32 v33, v13, v28
	v_dual_add_f32 v34, v28, v32 :: v_dual_add_f32 v37, v14, v47
	v_dual_sub_f32 v35, v16, v19 :: v_dual_add_f32 v36, v43, v16
	v_add_f32_e32 v16, v16, v19
	v_dual_add_f32 v38, v47, v50 :: v_dual_add_f32 v45, v48, v15
	v_sub_f32_e32 v28, v28, v32
	v_sub_f32_e32 v44, v15, v18
	v_add_f32_e32 v15, v15, v18
	v_dual_sub_f32 v23, v23, v25 :: v_dual_fmac_f32 v8, -0.5, v26
	v_dual_add_f32 v19, v36, v19 :: v_dual_fmac_f32 v42, -0.5, v17
	v_fmac_f32_e32 v13, -0.5, v34
	v_dual_fmac_f32 v43, -0.5, v16 :: v_dual_fmac_f32 v14, -0.5, v38
	v_dual_sub_f32 v46, v47, v50 :: v_dual_add_f32 v21, v21, v25
	v_dual_fmamk_f32 v47, v27, 0xbf5db3d7, v6 :: v_dual_add_f32 v16, v37, v50
	v_dual_fmac_f32 v6, 0x3f5db3d7, v27 :: v_dual_add_f32 v17, v33, v32
	v_dual_fmamk_f32 v27, v30, 0x3f5db3d7, v41 :: v_dual_fmac_f32 v48, -0.5, v15
	v_dual_fmac_f32 v41, 0xbf5db3d7, v30 :: v_dual_add_f32 v20, v31, v20
	v_lshl_add_u32 v39, v39, 2, 0
	v_dual_add_f32 v18, v45, v18 :: v_dual_fmamk_f32 v25, v23, 0x3f5db3d7, v42
	v_dual_fmamk_f32 v15, v29, 0xbf5db3d7, v8 :: v_dual_lshlrev_b32 v52, 2, v63
	v_fmac_f32_e32 v8, 0x3f5db3d7, v29
	v_dual_fmac_f32 v42, 0xbf5db3d7, v23 :: v_dual_fmamk_f32 v23, v35, 0xbf5db3d7, v13
	v_dual_fmamk_f32 v26, v28, 0x3f5db3d7, v43 :: v_dual_fmamk_f32 v29, v46, 0x3f5db3d7, v48
	v_dual_fmac_f32 v43, 0xbf5db3d7, v28 :: v_dual_fmamk_f32 v28, v44, 0xbf5db3d7, v14
	v_lshl_add_u32 v40, v40, 2, 0
	v_dual_fmac_f32 v13, 0x3f5db3d7, v35 :: v_dual_fmac_f32 v14, 0x3f5db3d7, v44
	v_dual_fmac_f32 v48, 0xbf5db3d7, v46 :: v_dual_lshlrev_b32 v49, 2, v49
	ds_store_2addr_b32 v7, v24, v47 offset1:16
	ds_store_b32 v7, v6 offset:128
	ds_store_2addr_b32 v39, v21, v15 offset1:16
	ds_store_b32 v39, v8 offset:128
	;; [unrolled: 2-line block ×4, first 2 shown]
	global_wb scope:SCOPE_SE
	s_wait_dscnt 0x0
	s_barrier_signal -1
	s_barrier_wait -1
	global_inv scope:SCOPE_SE
	ds_load_b32 v28, v0
	ds_load_b32 v30, v0 offset:1296
	ds_load_b32 v31, v0 offset:2592
	;; [unrolled: 1-line block ×11, first 2 shown]
	global_wb scope:SCOPE_SE
	s_wait_dscnt 0x0
	s_barrier_signal -1
	s_barrier_wait -1
	global_inv scope:SCOPE_SE
	ds_store_2addr_b32 v7, v22, v27 offset1:16
	ds_store_b32 v7, v41 offset:128
	ds_store_2addr_b32 v39, v20, v25 offset1:16
	ds_store_b32 v39, v42 offset:128
	;; [unrolled: 2-line block ×4, first 2 shown]
	global_wb scope:SCOPE_SE
	s_wait_dscnt 0x0
	s_barrier_signal -1
	s_barrier_wait -1
	global_inv scope:SCOPE_SE
	s_clause 0x1
	global_load_b128 v[6:9], v65, s[8:9] offset:256
	global_load_b128 v[13:16], v68, s[8:9] offset:256
	v_mul_lo_u16 v64, v58, 48
	v_lshlrev_b32_e32 v17, 4, v63
	v_mul_u32_u24_e32 v26, 0xe38f, v54
	v_mul_u32_u24_e32 v27, 0xe38f, v60
	;; [unrolled: 1-line block ×3, first 2 shown]
	v_sub_nc_u16 v64, v10, v64
	v_mul_u32_u24_e32 v48, 0x240, v58
	v_lshrrev_b32_e32 v29, 23, v26
	v_mul_u32_u24_e32 v26, 0xe38f, v59
	v_lshrrev_b32_e32 v43, 23, v27
	v_and_b32_e32 v25, 0xffff, v64
	v_mul_u32_u24_e32 v27, 0x240, v56
	v_add3_u32 v40, 0, v40, v49
	v_lshrrev_b32_e32 v42, 23, v26
	v_mul_u32_u24_e32 v26, 0x240, v55
	v_lshlrev_b32_e32 v21, 4, v25
	s_clause 0x1
	global_load_b128 v[17:20], v17, s[8:9] offset:256
	global_load_b128 v[21:24], v21, s[8:9] offset:256
	ds_load_b32 v55, v0 offset:10368
	v_lshlrev_b32_e32 v49, 2, v62
	ds_load_b32 v53, v0 offset:5184
	v_add3_u32 v27, 0, v27, v52
	ds_load_b32 v52, v0 offset:11664
	v_mul_u32_u24_e32 v39, 0xe38f, v61
	v_add3_u32 v26, 0, v26, v49
	ds_load_b32 v49, v0 offset:6480
	v_mul_lo_u16 v41, 0x90, v29
	v_mul_lo_u16 v46, 0x90, v42
	;; [unrolled: 1-line block ×3, first 2 shown]
	v_lshrrev_b32_e32 v39, 23, v39
	v_mul_u32_u24_e32 v42, 0x6c0, v42
	v_sub_nc_u16 v41, v5, v41
	v_sub_nc_u16 v46, v12, v46
	;; [unrolled: 1-line block ×3, first 2 shown]
	v_mul_lo_u16 v50, 0x90, v39
	v_mul_u32_u24_e32 v43, 0x6c0, v43
	v_and_b32_e32 v41, 0xffff, v41
	v_and_b32_e32 v46, 0xffff, v46
	;; [unrolled: 1-line block ×3, first 2 shown]
	v_sub_nc_u16 v50, v10, v50
	v_mul_u32_u24_e32 v39, 0x6c0, v39
	s_wait_loadcnt_dscnt 0x303
	v_mul_f32_e32 v64, v55, v9
	v_lshlrev_b32_e32 v25, 2, v25
	s_wait_dscnt 0x2
	v_dual_mul_f32 v63, v53, v7 :: v_dual_lshlrev_b32 v54, 4, v46
	v_mul_f32_e32 v7, v35, v7
	v_mul_f32_e32 v9, v37, v9
	v_add3_u32 v25, 0, v48, v25
	ds_load_b32 v48, v0 offset:7776
	ds_load_b32 v56, v0 offset:12960
	ds_load_b32 v57, v0 offset:9072
	ds_load_b32 v58, v0
	ds_load_b32 v59, v0 offset:1296
	ds_load_b32 v60, v0 offset:2592
	;; [unrolled: 1-line block ×4, first 2 shown]
	s_wait_loadcnt_dscnt 0x208
	v_mul_f32_e32 v65, v49, v14
	v_dual_mul_f32 v14, v32, v14 :: v_dual_lshlrev_b32 v51, 4, v41
	v_mul_f32_e32 v66, v52, v16
	v_dual_mul_f32 v16, v38, v16 :: v_dual_fmac_f32 v63, v35, v6
	v_fma_f32 v6, v53, v6, -v7
	global_wb scope:SCOPE_SE
	s_wait_loadcnt_dscnt 0x0
	v_dual_fmac_f32 v66, v38, v15 :: v_dual_fmac_f32 v65, v32, v13
	s_barrier_signal -1
	s_barrier_wait -1
	v_mul_f32_e32 v67, v48, v18
	v_mul_f32_e32 v68, v56, v20
	;; [unrolled: 1-line block ×3, first 2 shown]
	v_dual_mul_f32 v20, v44, v20 :: v_dual_mul_f32 v69, v57, v22
	v_mul_f32_e32 v22, v34, v22
	v_mul_f32_e32 v70, v61, v24
	;; [unrolled: 1-line block ×3, first 2 shown]
	v_fma_f32 v7, v55, v8, -v9
	v_fmac_f32_e32 v68, v44, v19
	v_dual_fmac_f32 v64, v37, v8 :: v_dual_fmac_f32 v69, v34, v21
	v_fma_f32 v8, v49, v13, -v14
	v_fma_f32 v9, v52, v15, -v16
	v_fmac_f32_e32 v67, v33, v17
	v_fma_f32 v13, v48, v17, -v18
	v_add_f32_e32 v18, v63, v64
	v_fma_f32 v14, v56, v19, -v20
	v_fmac_f32_e32 v70, v45, v23
	v_fma_f32 v15, v57, v21, -v22
	v_sub_f32_e32 v21, v63, v64
	v_fma_f32 v16, v61, v23, -v24
	v_dual_add_f32 v17, v28, v63 :: v_dual_add_f32 v20, v58, v6
	v_dual_sub_f32 v19, v6, v7 :: v_dual_sub_f32 v24, v8, v9
	v_dual_add_f32 v6, v6, v7 :: v_dual_add_f32 v23, v65, v66
	v_dual_add_f32 v32, v59, v8 :: v_dual_sub_f32 v37, v13, v14
	v_dual_add_f32 v8, v8, v9 :: v_dual_add_f32 v35, v67, v68
	v_add_f32_e32 v34, v31, v67
	v_dual_add_f32 v38, v60, v13 :: v_dual_sub_f32 v49, v15, v16
	v_add_f32_e32 v13, v13, v14
	v_add_f32_e32 v48, v69, v70
	v_dual_add_f32 v52, v62, v15 :: v_dual_sub_f32 v53, v69, v70
	v_add_f32_e32 v15, v15, v16
	v_dual_add_f32 v17, v17, v64 :: v_dual_fmac_f32 v28, -0.5, v18
	v_dual_add_f32 v7, v20, v7 :: v_dual_fmac_f32 v58, -0.5, v6
	v_dual_add_f32 v22, v30, v65 :: v_dual_sub_f32 v33, v65, v66
	v_dual_fmac_f32 v30, -0.5, v23 :: v_dual_fmac_f32 v59, -0.5, v8
	v_dual_sub_f32 v44, v67, v68 :: v_dual_add_f32 v45, v36, v69
	v_dual_add_f32 v8, v34, v68 :: v_dual_fmac_f32 v31, -0.5, v35
	v_fmac_f32_e32 v60, -0.5, v13
	v_fmac_f32_e32 v36, -0.5, v48
	v_add_f32_e32 v14, v38, v14
	v_fmac_f32_e32 v62, -0.5, v15
	v_fmamk_f32 v15, v19, 0xbf5db3d7, v28
	v_fmamk_f32 v18, v21, 0x3f5db3d7, v58
	v_fmac_f32_e32 v28, 0x3f5db3d7, v19
	v_fmac_f32_e32 v58, 0xbf5db3d7, v21
	v_dual_add_f32 v6, v22, v66 :: v_dual_add_f32 v9, v32, v9
	v_fmamk_f32 v19, v24, 0xbf5db3d7, v30
	v_fmamk_f32 v20, v33, 0x3f5db3d7, v59
	v_dual_fmac_f32 v30, 0x3f5db3d7, v24 :: v_dual_lshlrev_b32 v41, 2, v41
	v_fmac_f32_e32 v59, 0xbf5db3d7, v33
	v_dual_add_f32 v13, v45, v70 :: v_dual_add_f32 v16, v52, v16
	v_fmamk_f32 v21, v37, 0xbf5db3d7, v31
	v_dual_fmac_f32 v31, 0x3f5db3d7, v37 :: v_dual_fmamk_f32 v22, v44, 0x3f5db3d7, v60
	v_fmamk_f32 v23, v49, 0xbf5db3d7, v36
	v_fmac_f32_e32 v36, 0x3f5db3d7, v49
	global_inv scope:SCOPE_SE
	v_fmac_f32_e32 v60, 0xbf5db3d7, v44
	v_fmamk_f32 v24, v53, 0x3f5db3d7, v62
	ds_store_2addr_b32 v40, v17, v15 offset1:48
	ds_store_b32 v40, v28 offset:384
	ds_store_2addr_b32 v26, v6, v19 offset1:48
	ds_store_b32 v26, v30 offset:384
	;; [unrolled: 2-line block ×4, first 2 shown]
	global_wb scope:SCOPE_SE
	s_wait_dscnt 0x0
	s_barrier_signal -1
	s_barrier_wait -1
	global_inv scope:SCOPE_SE
	ds_load_b32 v31, v0
	ds_load_b32 v32, v0 offset:1296
	ds_load_b32 v33, v0 offset:2592
	;; [unrolled: 1-line block ×11, first 2 shown]
	v_fmac_f32_e32 v62, 0xbf5db3d7, v53
	global_wb scope:SCOPE_SE
	s_wait_dscnt 0x0
	s_barrier_signal -1
	s_barrier_wait -1
	global_inv scope:SCOPE_SE
	v_lshlrev_b32_e32 v6, 4, v47
	v_lshlrev_b32_e32 v47, 2, v47
	ds_store_2addr_b32 v40, v7, v18 offset1:48
	ds_store_b32 v40, v58 offset:384
	ds_store_2addr_b32 v26, v9, v20 offset1:48
	ds_store_b32 v26, v59 offset:384
	;; [unrolled: 2-line block ×4, first 2 shown]
	global_wb scope:SCOPE_SE
	s_wait_dscnt 0x0
	s_barrier_signal -1
	s_barrier_wait -1
	global_inv scope:SCOPE_SE
	s_clause 0x1
	global_load_b128 v[13:16], v51, s[8:9] offset:1024
	global_load_b128 v[17:20], v54, s[8:9] offset:1024
	v_and_b32_e32 v40, 0xffff, v50
	v_mul_u32_u24_e32 v53, 0x6c0, v29
	v_lshrrev_b16 v9, 4, v11
	v_lshlrev_b32_e32 v46, 2, v46
	v_add3_u32 v43, 0, v43, v47
	v_lshlrev_b32_e32 v7, 4, v40
	s_clause 0x1
	global_load_b128 v[21:24], v6, s[8:9] offset:1024
	global_load_b128 v[25:28], v7, s[8:9] offset:1024
	v_add3_u32 v41, 0, v53, v41
	ds_load_b32 v53, v0 offset:5184
	ds_load_b32 v54, v0 offset:10368
	;; [unrolled: 1-line block ×3, first 2 shown]
	v_add3_u32 v42, 0, v42, v46
	ds_load_b32 v46, v0 offset:6480
	v_and_b32_e32 v51, 0xffff, v9
	v_lshrrev_b16 v30, 4, v10
	v_dual_mov_b32 v7, 0 :: v_dual_lshlrev_b32 v6, 1, v5
	s_wait_loadcnt_dscnt 0x302
	v_dual_mul_f32 v62, v53, v14 :: v_dual_mul_f32 v63, v54, v16
	s_wait_loadcnt_dscnt 0x201
	v_mul_f32_e32 v65, v47, v20
	v_mul_u32_u24_e32 v51, 0x12f7, v51
	s_delay_alu instid0(VALU_DEP_3) | instskip(SKIP_1) | instid1(VALU_DEP_4)
	v_fmac_f32_e32 v62, v37, v13
	v_dual_fmac_f32 v63, v44, v15 :: v_dual_lshlrev_b32 v40, 2, v40
	v_fmac_f32_e32 v65, v45, v19
	s_delay_alu instid0(VALU_DEP_2)
	v_add3_u32 v39, 0, v39, v40
	ds_load_b32 v40, v0 offset:7776
	ds_load_b32 v55, v0 offset:12960
	;; [unrolled: 1-line block ×3, first 2 shown]
	ds_load_b32 v57, v0
	ds_load_b32 v58, v0 offset:1296
	ds_load_b32 v59, v0 offset:2592
	;; [unrolled: 1-line block ×4, first 2 shown]
	global_wb scope:SCOPE_SE
	s_wait_loadcnt_dscnt 0x0
	s_barrier_signal -1
	s_barrier_wait -1
	global_inv scope:SCOPE_SE
	v_dual_mul_f32 v66, v40, v22 :: v_dual_mul_f32 v67, v55, v24
	v_mul_f32_e32 v68, v56, v26
	v_mul_f32_e32 v26, v36, v26
	s_delay_alu instid0(VALU_DEP_3) | instskip(SKIP_1) | instid1(VALU_DEP_4)
	v_dual_fmac_f32 v66, v35, v21 :: v_dual_mul_f32 v69, v60, v28
	v_add_nc_u32_e32 v8, 0xffffff94, v5
	v_fmac_f32_e32 v68, v36, v25
	v_dual_fmac_f32 v67, v48, v23 :: v_dual_mul_f32 v20, v45, v20
	s_delay_alu instid0(VALU_DEP_4) | instskip(SKIP_1) | instid1(VALU_DEP_3)
	v_dual_fmac_f32 v69, v49, v27 :: v_dual_mul_f32 v64, v46, v18
	v_add_f32_e32 v36, v33, v66
	v_dual_mul_f32 v22, v35, v22 :: v_dual_sub_f32 v45, v66, v67
	v_mul_f32_e32 v28, v49, v28
	s_delay_alu instid0(VALU_DEP_4)
	v_fmac_f32_e32 v64, v34, v17
	v_dual_mul_f32 v14, v37, v14 :: v_dual_add_f32 v37, v66, v67
	s_wait_alu 0xf1ff
	v_cndmask_b32_e64 v50, v8, v12, s0
	v_lshlrev_b64_e32 v[8:9], 3, v[6:7]
	v_sub_f32_e32 v35, v64, v65
	v_fma_f32 v13, v53, v13, -v14
	v_mul_f32_e32 v16, v44, v16
	v_sub_f32_e32 v53, v68, v69
	v_fmac_f32_e32 v33, -0.5, v37
	v_add_co_u32 v8, s0, s8, v8
	s_delay_alu instid0(VALU_DEP_4)
	v_fma_f32 v14, v54, v15, -v16
	v_fma_f32 v16, v47, v19, -v20
	;; [unrolled: 1-line block ×3, first 2 shown]
	v_mul_f32_e32 v18, v34, v18
	v_fma_f32 v20, v60, v27, -v28
	s_wait_alu 0xf1ff
	v_add_co_ci_u32_e64 v9, s0, s9, v9, s0
	v_add_f32_e32 v49, v61, v19
	v_fma_f32 v15, v46, v17, -v18
	v_fma_f32 v17, v40, v21, -v22
	v_dual_add_f32 v22, v62, v63 :: v_dual_add_f32 v21, v31, v62
	v_mul_f32_e32 v24, v48, v24
	s_delay_alu instid0(VALU_DEP_4) | instskip(NEXT) | instid1(VALU_DEP_3)
	v_sub_f32_e32 v28, v15, v16
	v_dual_sub_f32 v48, v19, v20 :: v_dual_fmac_f32 v31, -0.5, v22
	v_dual_sub_f32 v25, v62, v63 :: v_dual_and_b32 v30, 0xffff, v30
	v_dual_add_f32 v34, v58, v15 :: v_dual_add_f32 v15, v15, v16
	v_fma_f32 v18, v55, v23, -v24
	s_delay_alu instid0(VALU_DEP_3) | instskip(SKIP_1) | instid1(VALU_DEP_4)
	v_mul_u32_u24_e32 v52, 0x12f7, v30
	v_sub_f32_e32 v23, v13, v14
	v_dual_add_f32 v19, v19, v20 :: v_dual_fmac_f32 v58, -0.5, v15
	v_dual_add_f32 v15, v36, v67 :: v_dual_lshlrev_b32 v6, 1, v50
	v_add_f32_e32 v27, v64, v65
	v_add_f32_e32 v24, v57, v13
	;; [unrolled: 1-line block ×3, first 2 shown]
	v_sub_f32_e32 v40, v17, v18
	v_lshlrev_b64_e32 v[29:30], 3, v[6:7]
	v_lshrrev_b32_e32 v6, 17, v51
	v_lshrrev_b32_e32 v51, 17, v52
	v_dual_add_f32 v44, v59, v17 :: v_dual_add_f32 v17, v17, v18
	v_fmac_f32_e32 v61, -0.5, v19
	s_delay_alu instid0(VALU_DEP_4)
	v_mul_lo_u16 v52, 0x1b0, v6
	v_fmamk_f32 v19, v23, 0xbf5db3d7, v31
	v_add_f32_e32 v47, v68, v69
	v_mul_lo_u16 v51, 0x1b0, v51
	v_dual_add_f32 v26, v32, v64 :: v_dual_fmac_f32 v59, -0.5, v17
	v_sub_nc_u16 v52, v11, v52
	v_dual_fmac_f32 v57, -0.5, v13 :: v_dual_add_f32 v46, v38, v68
	v_fmac_f32_e32 v38, -0.5, v47
	v_sub_nc_u16 v51, v10, v51
	s_delay_alu instid0(VALU_DEP_4)
	v_and_b32_e32 v52, 0xffff, v52
	v_fmac_f32_e32 v32, -0.5, v27
	v_add_f32_e32 v21, v21, v63
	v_add_f32_e32 v13, v26, v65
	v_fmac_f32_e32 v31, 0x3f5db3d7, v23
	v_fmamk_f32 v22, v25, 0x3f5db3d7, v57
	v_fmamk_f32 v23, v28, 0xbf5db3d7, v32
	v_dual_add_f32 v14, v24, v14 :: v_dual_fmac_f32 v57, 0xbf5db3d7, v25
	v_fmac_f32_e32 v32, 0x3f5db3d7, v28
	v_fmamk_f32 v24, v35, 0x3f5db3d7, v58
	v_fmamk_f32 v28, v53, 0x3f5db3d7, v61
	v_dual_fmac_f32 v61, 0xbf5db3d7, v53 :: v_dual_add_f32 v16, v34, v16
	v_fmamk_f32 v27, v48, 0xbf5db3d7, v38
	v_dual_fmac_f32 v58, 0xbf5db3d7, v35 :: v_dual_fmamk_f32 v25, v40, 0xbf5db3d7, v33
	v_dual_add_f32 v18, v44, v18 :: v_dual_fmac_f32 v33, 0x3f5db3d7, v40
	v_fmamk_f32 v26, v45, 0x3f5db3d7, v59
	v_fmac_f32_e32 v38, 0x3f5db3d7, v48
	v_dual_add_f32 v20, v49, v20 :: v_dual_fmac_f32 v59, 0xbf5db3d7, v45
	v_add_f32_e32 v17, v46, v69
	ds_store_2addr_b32 v41, v21, v19 offset1:144
	ds_store_b32 v41, v31 offset:1152
	ds_store_2addr_b32 v42, v13, v23 offset1:144
	ds_store_b32 v42, v32 offset:1152
	ds_store_2addr_b32 v43, v15, v25 offset1:144
	ds_store_b32 v43, v33 offset:1152
	ds_store_2addr_b32 v39, v17, v27 offset1:144
	ds_store_b32 v39, v38 offset:1152
	global_wb scope:SCOPE_SE
	s_wait_dscnt 0x0
	s_barrier_signal -1
	s_barrier_wait -1
	global_inv scope:SCOPE_SE
	ds_load_b32 v31, v0
	ds_load_b32 v32, v0 offset:1296
	ds_load_b32 v33, v0 offset:2592
	;; [unrolled: 1-line block ×11, first 2 shown]
	global_wb scope:SCOPE_SE
	s_wait_dscnt 0x0
	s_barrier_signal -1
	s_barrier_wait -1
	global_inv scope:SCOPE_SE
	ds_store_2addr_b32 v41, v14, v22 offset1:144
	ds_store_b32 v41, v57 offset:1152
	ds_store_2addr_b32 v42, v16, v24 offset1:144
	ds_store_b32 v42, v58 offset:1152
	;; [unrolled: 2-line block ×4, first 2 shown]
	v_and_b32_e32 v39, 0xffff, v51
	v_add_co_u32 v29, s0, s8, v29
	s_wait_alu 0xf1ff
	v_add_co_ci_u32_e64 v30, s0, s9, v30, s0
	s_delay_alu instid0(VALU_DEP_3)
	v_lshlrev_b32_e32 v25, 4, v39
	v_lshlrev_b32_e32 v21, 4, v52
	global_wb scope:SCOPE_SE
	s_wait_dscnt 0x0
	s_barrier_signal -1
	s_barrier_wait -1
	global_inv scope:SCOPE_SE
	s_clause 0x3
	global_load_b128 v[13:16], v[8:9], off offset:3328
	global_load_b128 v[17:20], v[29:30], off offset:3328
	global_load_b128 v[21:24], v21, s[8:9] offset:3328
	global_load_b128 v[25:28], v25, s[8:9] offset:3328
	v_cmp_lt_u32_e64 s0, 0x6b, v5
	v_lshlrev_b32_e32 v30, 2, v50
	v_mul_u32_u24_e32 v6, 0x1440, v6
	v_lshlrev_b32_e32 v42, 2, v52
	ds_load_b32 v41, v0 offset:5184
	s_wait_alu 0xf1ff
	v_cndmask_b32_e64 v29, 0, 0x1440, s0
	ds_load_b32 v43, v0 offset:10368
	ds_load_b32 v47, v0 offset:11664
	v_add3_u32 v6, 0, v6, v42
	v_lshl_add_u32 v39, v39, 2, 0
	v_add3_u32 v29, 0, v29, v30
	ds_load_b32 v30, v0 offset:6480
	ds_load_b32 v42, v0 offset:7776
	;; [unrolled: 1-line block ×4, first 2 shown]
	ds_load_b32 v50, v0
	ds_load_b32 v51, v0 offset:1296
	ds_load_b32 v52, v0 offset:2592
	;; [unrolled: 1-line block ×4, first 2 shown]
	global_wb scope:SCOPE_SE
	s_wait_loadcnt_dscnt 0x0
	s_barrier_signal -1
	s_barrier_wait -1
	global_inv scope:SCOPE_SE
	v_mul_f32_e32 v55, v41, v14
	v_dual_mul_f32 v59, v42, v22 :: v_dual_mul_f32 v60, v48, v24
	v_mul_f32_e32 v57, v30, v18
	s_delay_alu instid0(VALU_DEP_3) | instskip(NEXT) | instid1(VALU_DEP_3)
	v_dual_mul_f32 v22, v35, v22 :: v_dual_fmac_f32 v55, v37, v13
	v_dual_fmac_f32 v59, v35, v21 :: v_dual_fmac_f32 v60, v45, v23
	v_mul_f32_e32 v14, v37, v14
	v_mul_f32_e32 v18, v34, v18
	v_fmac_f32_e32 v57, v34, v17
	s_delay_alu instid0(VALU_DEP_4) | instskip(SKIP_4) | instid1(VALU_DEP_4)
	v_add_f32_e32 v35, v33, v59
	v_mul_f32_e32 v61, v49, v26
	v_fma_f32 v13, v41, v13, -v14
	v_mul_f32_e32 v56, v43, v16
	v_mul_f32_e32 v16, v40, v16
	v_fmac_f32_e32 v61, v36, v25
	s_delay_alu instid0(VALU_DEP_3) | instskip(NEXT) | instid1(VALU_DEP_3)
	v_fmac_f32_e32 v56, v40, v15
	v_fma_f32 v14, v43, v15, -v16
	v_fma_f32 v15, v30, v17, -v18
	;; [unrolled: 1-line block ×3, first 2 shown]
	v_add_f32_e32 v21, v31, v55
	v_add_f32_e32 v22, v55, v56
	v_mul_f32_e32 v24, v45, v24
	s_delay_alu instid0(VALU_DEP_2) | instskip(NEXT) | instid1(VALU_DEP_2)
	v_dual_add_f32 v40, v52, v17 :: v_dual_fmac_f32 v31, -0.5, v22
	v_fma_f32 v18, v48, v23, -v24
	v_dual_mul_f32 v58, v47, v20 :: v_dual_sub_f32 v23, v13, v14
	v_add_f32_e32 v24, v50, v13
	v_mul_f32_e32 v62, v53, v28
	s_delay_alu instid0(VALU_DEP_3) | instskip(SKIP_2) | instid1(VALU_DEP_2)
	v_dual_sub_f32 v37, v17, v18 :: v_dual_fmac_f32 v58, v44, v19
	v_dual_mul_f32 v20, v44, v20 :: v_dual_add_f32 v13, v13, v14
	v_add_f32_e32 v17, v17, v18
	v_fma_f32 v16, v47, v19, -v20
	v_dual_add_f32 v47, v24, v14 :: v_dual_fmac_f32 v62, v46, v27
	v_mul_f32_e32 v28, v46, v28
	v_fmac_f32_e32 v50, -0.5, v13
	s_delay_alu instid0(VALU_DEP_3) | instskip(NEXT) | instid1(VALU_DEP_3)
	v_dual_fmac_f32 v52, -0.5, v17 :: v_dual_add_f32 v43, v61, v62
	v_fma_f32 v20, v53, v27, -v28
	v_mul_f32_e32 v26, v36, v26
	v_add_f32_e32 v36, v59, v60
	s_delay_alu instid0(VALU_DEP_2) | instskip(NEXT) | instid1(VALU_DEP_2)
	v_fma_f32 v19, v49, v25, -v26
	v_fmac_f32_e32 v33, -0.5, v36
	v_add_f32_e32 v14, v35, v60
	v_sub_f32_e32 v41, v59, v60
	s_delay_alu instid0(VALU_DEP_4) | instskip(SKIP_3) | instid1(VALU_DEP_1)
	v_sub_f32_e32 v44, v19, v20
	v_add_f32_e32 v42, v38, v61
	v_add_f32_e32 v45, v54, v19
	v_dual_add_f32 v19, v19, v20 :: v_dual_fmac_f32 v38, -0.5, v43
	v_fmac_f32_e32 v54, -0.5, v19
	s_delay_alu instid0(VALU_DEP_2) | instskip(SKIP_1) | instid1(VALU_DEP_1)
	v_fmamk_f32 v19, v44, 0xbf5db3d7, v38
	v_add_f32_e32 v26, v32, v57
	v_dual_fmac_f32 v38, 0x3f5db3d7, v44 :: v_dual_add_f32 v13, v26, v58
	v_sub_f32_e32 v25, v55, v56
	v_add_f32_e32 v21, v21, v56
	v_dual_add_f32 v27, v57, v58 :: v_dual_sub_f32 v28, v15, v16
	v_sub_f32_e32 v34, v57, v58
	s_delay_alu instid0(VALU_DEP_4) | instskip(SKIP_1) | instid1(VALU_DEP_4)
	v_fmamk_f32 v35, v25, 0x3f5db3d7, v50
	v_fmac_f32_e32 v50, 0xbf5db3d7, v25
	v_fmac_f32_e32 v32, -0.5, v27
	v_add_f32_e32 v30, v51, v15
	v_add_f32_e32 v15, v15, v16
	v_dual_add_f32 v27, v40, v18 :: v_dual_fmamk_f32 v18, v37, 0xbf5db3d7, v33
	s_delay_alu instid0(VALU_DEP_3)
	v_dual_fmamk_f32 v17, v28, 0xbf5db3d7, v32 :: v_dual_add_f32 v26, v30, v16
	v_fmamk_f32 v16, v23, 0xbf5db3d7, v31
	v_fmac_f32_e32 v31, 0x3f5db3d7, v23
	v_fmac_f32_e32 v51, -0.5, v15
	v_dual_add_f32 v15, v42, v62 :: v_dual_add_f32 v30, v45, v20
	v_dual_fmac_f32 v32, 0x3f5db3d7, v28 :: v_dual_fmac_f32 v33, 0x3f5db3d7, v37
	ds_store_b32 v0, v21
	ds_store_b32 v0, v16 offset:1728
	ds_store_b32 v0, v31 offset:3456
	ds_store_b32 v29, v13
	ds_store_b32 v29, v17 offset:1728
	ds_store_b32 v29, v32 offset:3456
	;; [unrolled: 3-line block ×3, first 2 shown]
	ds_store_b32 v39, v15 offset:10368
	ds_store_b32 v39, v19 offset:12096
	;; [unrolled: 1-line block ×3, first 2 shown]
	global_wb scope:SCOPE_SE
	s_wait_dscnt 0x0
	s_barrier_signal -1
	s_barrier_wait -1
	global_inv scope:SCOPE_SE
	ds_load_b32 v15, v0
	ds_load_b32 v13, v0 offset:1296
	ds_load_b32 v14, v0 offset:2592
	;; [unrolled: 1-line block ×11, first 2 shown]
	v_dual_sub_f32 v46, v61, v62 :: v_dual_fmamk_f32 v25, v34, 0x3f5db3d7, v51
	v_fmac_f32_e32 v51, 0xbf5db3d7, v34
	v_fmamk_f32 v28, v41, 0x3f5db3d7, v52
	v_fmac_f32_e32 v52, 0xbf5db3d7, v41
	s_delay_alu instid0(VALU_DEP_4)
	v_fmamk_f32 v34, v46, 0x3f5db3d7, v54
	v_fmac_f32_e32 v54, 0xbf5db3d7, v46
	global_wb scope:SCOPE_SE
	s_wait_dscnt 0x0
	s_barrier_signal -1
	s_barrier_wait -1
	global_inv scope:SCOPE_SE
	ds_store_b32 v0, v47
	ds_store_b32 v0, v35 offset:1728
	ds_store_b32 v0, v50 offset:3456
	ds_store_b32 v29, v26
	ds_store_b32 v29, v25 offset:1728
	ds_store_b32 v29, v51 offset:3456
	;; [unrolled: 3-line block ×3, first 2 shown]
	ds_store_b32 v39, v30 offset:10368
	ds_store_b32 v39, v34 offset:12096
	;; [unrolled: 1-line block ×3, first 2 shown]
	global_wb scope:SCOPE_SE
	s_wait_dscnt 0x0
	s_barrier_signal -1
	s_barrier_wait -1
	global_inv scope:SCOPE_SE
	s_and_saveexec_b32 s0, vcc_lo
	s_cbranch_execz .LBB0_17
; %bb.16:
	v_lshlrev_b32_e32 v6, 1, v10
	v_mul_hi_u32 v10, 0xca4587e7, v10
	s_delay_alu instid0(VALU_DEP_2) | instskip(NEXT) | instid1(VALU_DEP_1)
	v_lshlrev_b64_e32 v[25:26], 3, v[6:7]
	v_add_co_u32 v25, vcc_lo, s8, v25
	s_wait_alu 0xfffd
	s_delay_alu instid0(VALU_DEP_2)
	v_add_co_ci_u32_e32 v26, vcc_lo, s9, v26, vcc_lo
	s_clause 0x1
	global_load_b128 v[25:28], v[25:26], off offset:10240
	global_load_b128 v[29:32], v[8:9], off offset:10240
	v_lshlrev_b32_e32 v6, 1, v11
	v_mul_hi_u32 v11, 0xca4587e7, v11
	s_delay_alu instid0(VALU_DEP_2) | instskip(NEXT) | instid1(VALU_DEP_2)
	v_lshlrev_b64_e32 v[33:34], 3, v[6:7]
	v_lshrrev_b32_e32 v11, 10, v11
	s_delay_alu instid0(VALU_DEP_2) | instskip(SKIP_1) | instid1(VALU_DEP_3)
	v_add_co_u32 v8, vcc_lo, s8, v33
	s_wait_alu 0xfffd
	v_add_co_ci_u32_e32 v9, vcc_lo, s9, v34, vcc_lo
	global_load_b128 v[33:36], v[8:9], off offset:10240
	v_lshlrev_b32_e32 v6, 1, v12
	s_delay_alu instid0(VALU_DEP_1) | instskip(SKIP_1) | instid1(VALU_DEP_2)
	v_lshlrev_b64_e32 v[8:9], 3, v[6:7]
	v_mov_b32_e32 v6, v7
	v_add_co_u32 v8, vcc_lo, s8, v8
	s_wait_alu 0xfffd
	s_delay_alu instid0(VALU_DEP_3)
	v_add_co_ci_u32_e32 v9, vcc_lo, s9, v9, vcc_lo
	global_load_b128 v[37:40], v[8:9], off offset:10240
	v_mul_lo_u32 v8, s3, v3
	v_mul_lo_u32 v9, s2, v4
	v_mad_co_u64_u32 v[3:4], null, s2, v3, 0
	ds_load_b32 v12, v0 offset:9072
	ds_load_b32 v41, v0 offset:7776
	;; [unrolled: 1-line block ×7, first 2 shown]
	ds_load_b32 v47, v0
	ds_load_b32 v48, v0 offset:14256
	ds_load_b32 v49, v0 offset:12960
	;; [unrolled: 1-line block ×4, first 2 shown]
	v_lshlrev_b64_e32 v[0:1], 3, v[1:2]
	v_add3_u32 v4, v4, v9, v8
	v_lshlrev_b64_e32 v[8:9], 3, v[5:6]
	v_lshrrev_b32_e32 v5, 10, v10
	v_mul_u32_u24_e32 v6, 0xa20, v11
	s_delay_alu instid0(VALU_DEP_4) | instskip(NEXT) | instid1(VALU_DEP_1)
	v_lshlrev_b64_e32 v[3:4], 3, v[3:4]
	v_add_co_u32 v10, vcc_lo, s6, v3
	s_wait_alu 0xfffd
	s_delay_alu instid0(VALU_DEP_2) | instskip(SKIP_1) | instid1(VALU_DEP_3)
	v_add_co_ci_u32_e32 v4, vcc_lo, s7, v4, vcc_lo
	v_lshlrev_b64_e32 v[2:3], 3, v[6:7]
	v_add_co_u32 v0, vcc_lo, v10, v0
	s_wait_alu 0xfffd
	s_delay_alu instid0(VALU_DEP_3) | instskip(SKIP_1) | instid1(VALU_DEP_3)
	v_add_co_ci_u32_e32 v1, vcc_lo, v4, v1, vcc_lo
	v_mul_u32_u24_e32 v6, 0xa20, v5
	v_add_co_u32 v0, vcc_lo, v0, v8
	s_wait_alu 0xfffd
	s_delay_alu instid0(VALU_DEP_3) | instskip(NEXT) | instid1(VALU_DEP_3)
	v_add_co_ci_u32_e32 v1, vcc_lo, v1, v9, vcc_lo
	v_lshlrev_b64_e32 v[4:5], 3, v[6:7]
	s_delay_alu instid0(VALU_DEP_3) | instskip(SKIP_1) | instid1(VALU_DEP_3)
	v_add_co_u32 v2, vcc_lo, v0, v2
	s_wait_alu 0xfffd
	v_add_co_ci_u32_e32 v3, vcc_lo, v1, v3, vcc_lo
	s_delay_alu instid0(VALU_DEP_3)
	v_add_co_u32 v4, vcc_lo, v0, v4
	s_wait_alu 0xfffd
	v_add_co_ci_u32_e32 v5, vcc_lo, v1, v5, vcc_lo
	s_wait_loadcnt_dscnt 0x30b
	v_mul_f32_e32 v8, v12, v26
	v_dual_mul_f32 v6, v23, v26 :: v_dual_mul_f32 v7, v24, v28
	s_wait_loadcnt 0x2
	v_mul_f32_e32 v9, v21, v30
	s_delay_alu instid0(VALU_DEP_3) | instskip(SKIP_1) | instid1(VALU_DEP_2)
	v_dual_mul_f32 v11, v22, v32 :: v_dual_fmac_f32 v8, v23, v25
	s_wait_dscnt 0x8
	v_fma_f32 v9, v29, v43, -v9
	s_wait_loadcnt 0x1
	v_mul_f32_e32 v23, v20, v36
	v_fma_f32 v6, v25, v12, -v6
	s_wait_dscnt 0x3
	v_fma_f32 v12, v27, v48, -v7
	v_mul_f32_e32 v26, v43, v30
	v_mul_f32_e32 v7, v19, v34
	s_wait_dscnt 0x2
	v_fma_f32 v23, v35, v49, -v23
	v_mul_f32_e32 v10, v48, v28
	s_delay_alu instid0(VALU_DEP_1) | instskip(NEXT) | instid1(VALU_DEP_1)
	v_dual_mul_f32 v25, v49, v36 :: v_dual_fmac_f32 v10, v24, v27
	v_dual_mul_f32 v24, v41, v34 :: v_dual_fmac_f32 v25, v20, v35
	s_wait_dscnt 0x0
	v_fma_f32 v27, v31, v51, -v11
	v_dual_add_f32 v11, v6, v12 :: v_dual_fmac_f32 v26, v21, v29
	v_sub_f32_e32 v29, v6, v12
	v_dual_mul_f32 v28, v51, v32 :: v_dual_sub_f32 v21, v8, v10
	s_wait_loadcnt 0x0
	v_mul_f32_e32 v20, v17, v40
	s_delay_alu instid0(VALU_DEP_2)
	v_fmac_f32_e32 v28, v22, v31
	v_fma_f32 v31, v33, v41, -v7
	v_add_f32_e32 v30, v44, v6
	v_dual_fmac_f32 v24, v19, v33 :: v_dual_mul_f32 v19, v16, v38
	v_dual_mul_f32 v33, v50, v40 :: v_dual_add_f32 v22, v8, v10
	v_add_f32_e32 v8, v18, v8
	v_fma_f32 v7, -0.5, v11, v44
	v_sub_f32_e32 v41, v31, v23
	s_delay_alu instid0(VALU_DEP_4)
	v_fmac_f32_e32 v33, v17, v39
	v_fma_f32 v6, -0.5, v22, v18
	v_mul_f32_e32 v32, v42, v38
	v_fmamk_f32 v18, v21, 0xbf5db3d7, v7
	v_fmac_f32_e32 v7, 0x3f5db3d7, v21
	v_sub_f32_e32 v35, v26, v28
	v_fmamk_f32 v17, v29, 0x3f5db3d7, v6
	v_fmac_f32_e32 v32, v16, v37
	v_add_f32_e32 v40, v47, v9
	v_add_f32_e32 v36, v26, v28
	v_sub_f32_e32 v38, v9, v27
	v_add_f32_e32 v26, v15, v26
	v_add_f32_e32 v34, v9, v27
	v_dual_fmac_f32 v6, 0xbf5db3d7, v29 :: v_dual_add_f32 v29, v13, v32
	v_add_f32_e32 v16, v40, v27
	v_add_f32_e32 v27, v32, v33
	;; [unrolled: 1-line block ×3, first 2 shown]
	v_fma_f32 v42, v37, v42, -v19
	v_add_f32_e32 v8, v8, v10
	s_delay_alu instid0(VALU_DEP_4) | instskip(SKIP_3) | instid1(VALU_DEP_3)
	v_fma_f32 v13, -0.5, v27, v13
	v_add_f32_e32 v22, v24, v25
	v_sub_f32_e32 v30, v24, v25
	v_dual_add_f32 v24, v14, v24 :: v_dual_add_f32 v27, v29, v33
	v_fma_f32 v19, -0.5, v22, v14
	v_add_f32_e32 v12, v31, v23
	v_add_f32_e32 v31, v45, v31
	s_delay_alu instid0(VALU_DEP_4)
	v_add_f32_e32 v21, v24, v25
	v_fma_f32 v43, v39, v50, -v20
	v_fmamk_f32 v25, v41, 0x3f5db3d7, v19
	v_fma_f32 v20, -0.5, v12, v45
	v_dual_add_f32 v22, v31, v23 :: v_dual_sub_f32 v31, v32, v33
	v_fma_f32 v10, -0.5, v36, v15
	v_dual_add_f32 v12, v42, v43 :: v_dual_fmac_f32 v19, 0xbf5db3d7, v41
	s_delay_alu instid0(VALU_DEP_2)
	v_fmamk_f32 v23, v38, 0x3f5db3d7, v10
	v_add_f32_e32 v15, v26, v28
	v_add_f32_e32 v28, v46, v42
	v_fma_f32 v11, -0.5, v34, v47
	v_sub_f32_e32 v34, v42, v43
	v_fma_f32 v14, -0.5, v12, v46
	v_fmac_f32_e32 v10, 0xbf5db3d7, v38
	v_add_f32_e32 v28, v28, v43
	v_fmamk_f32 v24, v35, 0xbf5db3d7, v11
	v_fmac_f32_e32 v11, 0x3f5db3d7, v35
	v_fmamk_f32 v29, v34, 0x3f5db3d7, v13
	v_fmamk_f32 v26, v30, 0xbf5db3d7, v20
	v_fmac_f32_e32 v20, 0x3f5db3d7, v30
	v_fmamk_f32 v30, v31, 0xbf5db3d7, v14
	v_fmac_f32_e32 v14, 0x3f5db3d7, v31
	v_fmac_f32_e32 v13, 0xbf5db3d7, v34
	s_clause 0xb
	global_store_b64 v[0:1], v[15:16], off
	global_store_b64 v[0:1], v[27:28], off offset:2592
	global_store_b64 v[0:1], v[10:11], off offset:10368
	;; [unrolled: 1-line block ×11, first 2 shown]
.LBB0_17:
	s_nop 0
	s_sendmsg sendmsg(MSG_DEALLOC_VGPRS)
	s_endpgm
	.section	.rodata,"a",@progbits
	.p2align	6, 0x0
	.amdhsa_kernel fft_rtc_back_len3888_factors_16_3_3_3_3_3_wgs_324_tpt_324_halfLds_sp_op_CI_CI_unitstride_sbrr_dirReg
		.amdhsa_group_segment_fixed_size 0
		.amdhsa_private_segment_fixed_size 0
		.amdhsa_kernarg_size 104
		.amdhsa_user_sgpr_count 2
		.amdhsa_user_sgpr_dispatch_ptr 0
		.amdhsa_user_sgpr_queue_ptr 0
		.amdhsa_user_sgpr_kernarg_segment_ptr 1
		.amdhsa_user_sgpr_dispatch_id 0
		.amdhsa_user_sgpr_private_segment_size 0
		.amdhsa_wavefront_size32 1
		.amdhsa_uses_dynamic_stack 0
		.amdhsa_enable_private_segment 0
		.amdhsa_system_sgpr_workgroup_id_x 1
		.amdhsa_system_sgpr_workgroup_id_y 0
		.amdhsa_system_sgpr_workgroup_id_z 0
		.amdhsa_system_sgpr_workgroup_info 0
		.amdhsa_system_vgpr_workitem_id 0
		.amdhsa_next_free_vgpr 71
		.amdhsa_next_free_sgpr 39
		.amdhsa_reserve_vcc 1
		.amdhsa_float_round_mode_32 0
		.amdhsa_float_round_mode_16_64 0
		.amdhsa_float_denorm_mode_32 3
		.amdhsa_float_denorm_mode_16_64 3
		.amdhsa_fp16_overflow 0
		.amdhsa_workgroup_processor_mode 1
		.amdhsa_memory_ordered 1
		.amdhsa_forward_progress 0
		.amdhsa_round_robin_scheduling 0
		.amdhsa_exception_fp_ieee_invalid_op 0
		.amdhsa_exception_fp_denorm_src 0
		.amdhsa_exception_fp_ieee_div_zero 0
		.amdhsa_exception_fp_ieee_overflow 0
		.amdhsa_exception_fp_ieee_underflow 0
		.amdhsa_exception_fp_ieee_inexact 0
		.amdhsa_exception_int_div_zero 0
	.end_amdhsa_kernel
	.text
.Lfunc_end0:
	.size	fft_rtc_back_len3888_factors_16_3_3_3_3_3_wgs_324_tpt_324_halfLds_sp_op_CI_CI_unitstride_sbrr_dirReg, .Lfunc_end0-fft_rtc_back_len3888_factors_16_3_3_3_3_3_wgs_324_tpt_324_halfLds_sp_op_CI_CI_unitstride_sbrr_dirReg
                                        ; -- End function
	.section	.AMDGPU.csdata,"",@progbits
; Kernel info:
; codeLenInByte = 9312
; NumSgprs: 41
; NumVgprs: 71
; ScratchSize: 0
; MemoryBound: 0
; FloatMode: 240
; IeeeMode: 1
; LDSByteSize: 0 bytes/workgroup (compile time only)
; SGPRBlocks: 5
; VGPRBlocks: 8
; NumSGPRsForWavesPerEU: 41
; NumVGPRsForWavesPerEU: 71
; Occupancy: 14
; WaveLimiterHint : 1
; COMPUTE_PGM_RSRC2:SCRATCH_EN: 0
; COMPUTE_PGM_RSRC2:USER_SGPR: 2
; COMPUTE_PGM_RSRC2:TRAP_HANDLER: 0
; COMPUTE_PGM_RSRC2:TGID_X_EN: 1
; COMPUTE_PGM_RSRC2:TGID_Y_EN: 0
; COMPUTE_PGM_RSRC2:TGID_Z_EN: 0
; COMPUTE_PGM_RSRC2:TIDIG_COMP_CNT: 0
	.text
	.p2alignl 7, 3214868480
	.fill 96, 4, 3214868480
	.type	__hip_cuid_bae443e3f59c562d,@object ; @__hip_cuid_bae443e3f59c562d
	.section	.bss,"aw",@nobits
	.globl	__hip_cuid_bae443e3f59c562d
__hip_cuid_bae443e3f59c562d:
	.byte	0                               ; 0x0
	.size	__hip_cuid_bae443e3f59c562d, 1

	.ident	"AMD clang version 19.0.0git (https://github.com/RadeonOpenCompute/llvm-project roc-6.4.0 25133 c7fe45cf4b819c5991fe208aaa96edf142730f1d)"
	.section	".note.GNU-stack","",@progbits
	.addrsig
	.addrsig_sym __hip_cuid_bae443e3f59c562d
	.amdgpu_metadata
---
amdhsa.kernels:
  - .args:
      - .actual_access:  read_only
        .address_space:  global
        .offset:         0
        .size:           8
        .value_kind:     global_buffer
      - .offset:         8
        .size:           8
        .value_kind:     by_value
      - .actual_access:  read_only
        .address_space:  global
        .offset:         16
        .size:           8
        .value_kind:     global_buffer
      - .actual_access:  read_only
        .address_space:  global
        .offset:         24
        .size:           8
        .value_kind:     global_buffer
      - .actual_access:  read_only
        .address_space:  global
        .offset:         32
        .size:           8
        .value_kind:     global_buffer
      - .offset:         40
        .size:           8
        .value_kind:     by_value
      - .actual_access:  read_only
        .address_space:  global
        .offset:         48
        .size:           8
        .value_kind:     global_buffer
      - .actual_access:  read_only
        .address_space:  global
        .offset:         56
        .size:           8
        .value_kind:     global_buffer
      - .offset:         64
        .size:           4
        .value_kind:     by_value
      - .actual_access:  read_only
        .address_space:  global
        .offset:         72
        .size:           8
        .value_kind:     global_buffer
      - .actual_access:  read_only
        .address_space:  global
        .offset:         80
        .size:           8
        .value_kind:     global_buffer
      - .actual_access:  read_only
        .address_space:  global
        .offset:         88
        .size:           8
        .value_kind:     global_buffer
      - .actual_access:  write_only
        .address_space:  global
        .offset:         96
        .size:           8
        .value_kind:     global_buffer
    .group_segment_fixed_size: 0
    .kernarg_segment_align: 8
    .kernarg_segment_size: 104
    .language:       OpenCL C
    .language_version:
      - 2
      - 0
    .max_flat_workgroup_size: 324
    .name:           fft_rtc_back_len3888_factors_16_3_3_3_3_3_wgs_324_tpt_324_halfLds_sp_op_CI_CI_unitstride_sbrr_dirReg
    .private_segment_fixed_size: 0
    .sgpr_count:     41
    .sgpr_spill_count: 0
    .symbol:         fft_rtc_back_len3888_factors_16_3_3_3_3_3_wgs_324_tpt_324_halfLds_sp_op_CI_CI_unitstride_sbrr_dirReg.kd
    .uniform_work_group_size: 1
    .uses_dynamic_stack: false
    .vgpr_count:     71
    .vgpr_spill_count: 0
    .wavefront_size: 32
    .workgroup_processor_mode: 1
amdhsa.target:   amdgcn-amd-amdhsa--gfx1201
amdhsa.version:
  - 1
  - 2
...

	.end_amdgpu_metadata
